;; amdgpu-corpus repo=ROCm/rocFFT kind=compiled arch=gfx1100 opt=O3
	.text
	.amdgcn_target "amdgcn-amd-amdhsa--gfx1100"
	.amdhsa_code_object_version 6
	.protected	bluestein_single_back_len576_dim1_dp_op_CI_CI ; -- Begin function bluestein_single_back_len576_dim1_dp_op_CI_CI
	.globl	bluestein_single_back_len576_dim1_dp_op_CI_CI
	.p2align	8
	.type	bluestein_single_back_len576_dim1_dp_op_CI_CI,@function
bluestein_single_back_len576_dim1_dp_op_CI_CI: ; @bluestein_single_back_len576_dim1_dp_op_CI_CI
; %bb.0:
	s_load_b128 s[4:7], s[0:1], 0x28
	v_mul_u32_u24_e32 v1, 0x2ab, v0
	s_mov_b32 s2, exec_lo
	v_mov_b32_e32 v117, 0
	s_delay_alu instid0(VALU_DEP_2) | instskip(NEXT) | instid1(VALU_DEP_1)
	v_lshrrev_b32_e32 v1, 16, v1
	v_add_nc_u32_e32 v116, s15, v1
	s_waitcnt lgkmcnt(0)
	s_delay_alu instid0(VALU_DEP_1)
	v_cmpx_gt_u64_e64 s[4:5], v[116:117]
	s_cbranch_execz .LBB0_15
; %bb.1:
	s_clause 0x1
	s_load_b64 s[14:15], s[0:1], 0x0
	s_load_b64 s[12:13], s[0:1], 0x38
	v_mul_lo_u16 v1, 0x60, v1
	s_delay_alu instid0(VALU_DEP_1) | instskip(NEXT) | instid1(VALU_DEP_1)
	v_sub_nc_u16 v0, v0, v1
	v_and_b32_e32 v120, 0xffff, v0
	v_cmp_gt_u16_e32 vcc_lo, 36, v0
	s_delay_alu instid0(VALU_DEP_2)
	v_lshlrev_b32_e32 v119, 4, v120
	s_and_saveexec_b32 s3, vcc_lo
	s_cbranch_execz .LBB0_3
; %bb.2:
	s_load_b64 s[4:5], s[0:1], 0x18
	s_waitcnt lgkmcnt(0)
	s_load_b128 s[8:11], s[4:5], 0x0
	s_clause 0x6
	global_load_b128 v[0:3], v119, s[14:15]
	global_load_b128 v[4:7], v119, s[14:15] offset:576
	global_load_b128 v[8:11], v119, s[14:15] offset:1152
	;; [unrolled: 1-line block ×6, first 2 shown]
	s_waitcnt lgkmcnt(0)
	v_mad_u64_u32 v[32:33], null, s10, v116, 0
	v_mad_u64_u32 v[34:35], null, s8, v120, 0
	s_mul_i32 s4, s9, 0x240
	s_mul_hi_u32 s5, s8, 0x240
	s_delay_alu instid0(SALU_CYCLE_1) | instskip(NEXT) | instid1(VALU_DEP_1)
	s_add_i32 s5, s5, s4
	v_dual_mov_b32 v28, v33 :: v_dual_mov_b32 v29, v35
	s_delay_alu instid0(VALU_DEP_1) | instskip(SKIP_2) | instid1(VALU_DEP_1)
	v_mad_u64_u32 v[35:36], null, s11, v116, v[28:29]
	v_mad_u64_u32 v[36:37], null, s9, v120, v[29:30]
	v_add_co_u32 v37, s2, s14, v119
	v_add_co_ci_u32_e64 v38, null, s15, 0, s2
	s_delay_alu instid0(VALU_DEP_4) | instskip(NEXT) | instid1(VALU_DEP_3)
	v_mov_b32_e32 v33, v35
	v_add_co_u32 v117, s2, 0x2000, v37
	v_mov_b32_e32 v35, v36
	s_delay_alu instid0(VALU_DEP_4) | instskip(NEXT) | instid1(VALU_DEP_4)
	v_add_co_ci_u32_e64 v118, s2, 0, v38, s2
	v_lshlrev_b64 v[32:33], 4, v[32:33]
	v_add_co_u32 v112, s2, 0x1000, v37
	s_delay_alu instid0(VALU_DEP_1) | instskip(SKIP_1) | instid1(VALU_DEP_4)
	v_add_co_ci_u32_e64 v113, s2, 0, v38, s2
	v_lshlrev_b64 v[34:35], 4, v[34:35]
	v_add_co_u32 v32, s2, s6, v32
	s_delay_alu instid0(VALU_DEP_1) | instskip(SKIP_1) | instid1(VALU_DEP_2)
	v_add_co_ci_u32_e64 v33, s2, s7, v33, s2
	s_mul_i32 s6, s8, 0x240
	v_add_co_u32 v56, s2, v32, v34
	s_delay_alu instid0(VALU_DEP_1) | instskip(SKIP_2) | instid1(VALU_DEP_1)
	v_add_co_ci_u32_e64 v57, s2, v33, v35, s2
	global_load_b128 v[28:31], v119, s[14:15] offset:4032
	v_add_co_u32 v60, s2, v56, s6
	v_add_co_ci_u32_e64 v61, s2, s5, v57, s2
	s_clause 0x1
	global_load_b128 v[32:35], v[112:113], off offset:512
	global_load_b128 v[36:39], v[112:113], off offset:1088
	v_add_co_u32 v64, s2, v60, s6
	s_delay_alu instid0(VALU_DEP_1) | instskip(SKIP_4) | instid1(VALU_DEP_1)
	v_add_co_ci_u32_e64 v65, s2, s5, v61, s2
	s_clause 0x1
	global_load_b128 v[40:43], v[112:113], off offset:1664
	global_load_b128 v[44:47], v[112:113], off offset:2240
	v_add_co_u32 v68, s2, v64, s6
	v_add_co_ci_u32_e64 v69, s2, s5, v65, s2
	s_clause 0x1
	global_load_b128 v[48:51], v[112:113], off offset:2816
	global_load_b128 v[52:55], v[112:113], off offset:3392
	v_add_co_u32 v72, s2, v68, s6
	s_delay_alu instid0(VALU_DEP_1) | instskip(SKIP_4) | instid1(VALU_DEP_1)
	v_add_co_ci_u32_e64 v73, s2, s5, v69, s2
	s_clause 0x1
	global_load_b128 v[56:59], v[56:57], off
	global_load_b128 v[60:63], v[60:61], off
	v_add_co_u32 v76, s2, v72, s6
	v_add_co_ci_u32_e64 v77, s2, s5, v73, s2
	s_clause 0x1
	global_load_b128 v[64:67], v[64:65], off
	global_load_b128 v[68:71], v[68:69], off
	v_add_co_u32 v80, s2, v76, s6
	s_delay_alu instid0(VALU_DEP_1) | instskip(SKIP_2) | instid1(VALU_DEP_1)
	v_add_co_ci_u32_e64 v81, s2, s5, v77, s2
	global_load_b128 v[72:75], v[72:73], off
	v_add_co_u32 v84, s2, v80, s6
	v_add_co_ci_u32_e64 v85, s2, s5, v81, s2
	global_load_b128 v[76:79], v[76:77], off
	v_add_co_u32 v88, s2, v84, s6
	s_delay_alu instid0(VALU_DEP_1) | instskip(SKIP_2) | instid1(VALU_DEP_1)
	v_add_co_ci_u32_e64 v89, s2, s5, v85, s2
	global_load_b128 v[80:83], v[80:81], off
	v_add_co_u32 v92, s2, v88, s6
	v_add_co_ci_u32_e64 v93, s2, s5, v89, s2
	;; [unrolled: 7-line block ×5, first 2 shown]
	global_load_b128 v[108:111], v[108:109], off
	global_load_b128 v[112:115], v[112:113], off offset:3968
	global_load_b128 v[121:124], v[121:122], off
	global_load_b128 v[125:128], v[117:118], off offset:448
	global_load_b128 v[129:132], v[129:130], off
	s_waitcnt vmcnt(17)
	v_mul_f64 v[117:118], v[58:59], v[2:3]
	v_mul_f64 v[2:3], v[56:57], v[2:3]
	s_waitcnt vmcnt(16)
	v_mul_f64 v[133:134], v[62:63], v[6:7]
	v_mul_f64 v[6:7], v[60:61], v[6:7]
	s_waitcnt vmcnt(15)
	v_mul_f64 v[135:136], v[66:67], v[10:11]
	v_mul_f64 v[10:11], v[64:65], v[10:11]
	s_waitcnt vmcnt(14)
	v_mul_f64 v[137:138], v[70:71], v[14:15]
	v_mul_f64 v[14:15], v[68:69], v[14:15]
	s_waitcnt vmcnt(13)
	v_mul_f64 v[139:140], v[74:75], v[18:19]
	v_mul_f64 v[18:19], v[72:73], v[18:19]
	s_waitcnt vmcnt(12)
	v_mul_f64 v[141:142], v[78:79], v[22:23]
	v_mul_f64 v[22:23], v[76:77], v[22:23]
	s_waitcnt vmcnt(11)
	v_mul_f64 v[143:144], v[82:83], v[26:27]
	v_mul_f64 v[26:27], v[80:81], v[26:27]
	s_waitcnt vmcnt(10)
	v_mul_f64 v[145:146], v[86:87], v[30:31]
	v_mul_f64 v[30:31], v[84:85], v[30:31]
	s_waitcnt vmcnt(9)
	v_mul_f64 v[147:148], v[90:91], v[34:35]
	v_mul_f64 v[34:35], v[88:89], v[34:35]
	s_waitcnt vmcnt(8)
	v_mul_f64 v[149:150], v[94:95], v[38:39]
	v_mul_f64 v[38:39], v[92:93], v[38:39]
	s_waitcnt vmcnt(7)
	v_mul_f64 v[151:152], v[98:99], v[42:43]
	v_mul_f64 v[42:43], v[96:97], v[42:43]
	s_waitcnt vmcnt(6)
	v_mul_f64 v[153:154], v[102:103], v[46:47]
	v_mul_f64 v[46:47], v[100:101], v[46:47]
	s_waitcnt vmcnt(5)
	v_mul_f64 v[155:156], v[106:107], v[50:51]
	v_mul_f64 v[50:51], v[104:105], v[50:51]
	s_waitcnt vmcnt(4)
	v_mul_f64 v[157:158], v[110:111], v[54:55]
	v_mul_f64 v[159:160], v[108:109], v[54:55]
	s_waitcnt vmcnt(2)
	v_mul_f64 v[161:162], v[123:124], v[114:115]
	v_mul_f64 v[114:115], v[121:122], v[114:115]
	s_waitcnt vmcnt(0)
	v_mul_f64 v[163:164], v[131:132], v[127:128]
	v_mul_f64 v[127:128], v[129:130], v[127:128]
	v_fma_f64 v[54:55], v[56:57], v[0:1], v[117:118]
	v_fma_f64 v[56:57], v[58:59], v[0:1], -v[2:3]
	v_fma_f64 v[0:1], v[60:61], v[4:5], v[133:134]
	v_fma_f64 v[2:3], v[62:63], v[4:5], -v[6:7]
	;; [unrolled: 2-line block ×16, first 2 shown]
	ds_store_b128 v119, v[54:57]
	ds_store_b128 v119, v[0:3] offset:576
	ds_store_b128 v119, v[4:7] offset:1152
	;; [unrolled: 1-line block ×15, first 2 shown]
.LBB0_3:
	s_or_b32 exec_lo, exec_lo, s3
	s_load_b64 s[2:3], s[0:1], 0x20
	s_waitcnt lgkmcnt(0)
	s_barrier
	buffer_gl0_inv
                                        ; implicit-def: $vgpr0_vgpr1
                                        ; implicit-def: $vgpr16_vgpr17
                                        ; implicit-def: $vgpr32_vgpr33
                                        ; implicit-def: $vgpr56_vgpr57
                                        ; implicit-def: $vgpr60_vgpr61
                                        ; implicit-def: $vgpr48_vgpr49
                                        ; implicit-def: $vgpr52_vgpr53
                                        ; implicit-def: $vgpr40_vgpr41
                                        ; implicit-def: $vgpr44_vgpr45
                                        ; implicit-def: $vgpr36_vgpr37
                                        ; implicit-def: $vgpr28_vgpr29
                                        ; implicit-def: $vgpr24_vgpr25
                                        ; implicit-def: $vgpr20_vgpr21
                                        ; implicit-def: $vgpr12_vgpr13
                                        ; implicit-def: $vgpr8_vgpr9
                                        ; implicit-def: $vgpr4_vgpr5
	s_and_saveexec_b32 s4, vcc_lo
	s_cbranch_execz .LBB0_5
; %bb.4:
	ds_load_b128 v[0:3], v119
	ds_load_b128 v[4:7], v119 offset:576
	ds_load_b128 v[8:11], v119 offset:1152
	;; [unrolled: 1-line block ×15, first 2 shown]
.LBB0_5:
	s_or_b32 exec_lo, exec_lo, s4
	s_waitcnt lgkmcnt(7)
	v_add_f64 v[36:37], v[0:1], -v[36:37]
	v_add_f64 v[38:39], v[2:3], -v[38:39]
	s_waitcnt lgkmcnt(3)
	v_add_f64 v[52:53], v[20:21], -v[52:53]
	v_add_f64 v[54:55], v[22:23], -v[54:55]
	;; [unrolled: 1-line block ×4, first 2 shown]
	s_waitcnt lgkmcnt(1)
	v_add_f64 v[60:61], v[16:17], -v[60:61]
	v_add_f64 v[62:63], v[18:19], -v[62:63]
	;; [unrolled: 1-line block ×8, first 2 shown]
	s_waitcnt lgkmcnt(0)
	v_add_f64 v[58:59], v[30:31], -v[58:59]
	v_add_f64 v[56:57], v[28:29], -v[56:57]
	s_mov_b32 s4, 0x667f3bcd
	s_mov_b32 s5, 0xbfe6a09e
	;; [unrolled: 1-line block ×12, first 2 shown]
	s_load_b64 s[0:1], s[0:1], 0x8
	v_lshlrev_b16 v121, 4, v120
	s_waitcnt lgkmcnt(0)
	s_barrier
	buffer_gl0_inv
	v_fma_f64 v[0:1], v[0:1], 2.0, -v[36:37]
	v_fma_f64 v[2:3], v[2:3], 2.0, -v[38:39]
	v_add_f64 v[66:67], v[38:39], v[52:53]
	v_add_f64 v[64:65], v[36:37], -v[54:55]
	v_fma_f64 v[20:21], v[20:21], 2.0, -v[52:53]
	v_fma_f64 v[22:23], v[22:23], 2.0, -v[54:55]
	v_add_f64 v[70:71], v[60:61], v[46:47]
	v_add_f64 v[68:69], v[44:45], -v[62:63]
	;; [unrolled: 4-line block ×3, first 2 shown]
	v_fma_f64 v[16:17], v[16:17], 2.0, -v[60:61]
	v_fma_f64 v[18:19], v[18:19], 2.0, -v[62:63]
	v_add_f64 v[76:77], v[40:41], -v[58:59]
	v_add_f64 v[78:79], v[56:57], v[42:43]
	v_fma_f64 v[4:5], v[4:5], 2.0, -v[32:33]
	v_fma_f64 v[6:7], v[6:7], 2.0, -v[34:35]
	;; [unrolled: 1-line block ×10, first 2 shown]
	v_add_f64 v[20:21], v[0:1], -v[20:21]
	v_add_f64 v[48:49], v[2:3], -v[22:23]
	v_fma_f64 v[46:47], v[46:47], 2.0, -v[70:71]
	v_fma_f64 v[44:45], v[44:45], 2.0, -v[68:69]
	v_fma_f64 v[22:23], v[68:69], s[6:7], v[64:65]
	v_fma_f64 v[50:51], v[70:71], s[6:7], v[66:67]
	v_fma_f64 v[34:35], v[34:35], 2.0, -v[74:75]
	v_fma_f64 v[32:33], v[32:33], 2.0, -v[72:73]
	v_add_f64 v[16:17], v[8:9], -v[16:17]
	v_add_f64 v[18:19], v[10:11], -v[18:19]
	v_fma_f64 v[40:41], v[40:41], 2.0, -v[76:77]
	v_fma_f64 v[42:43], v[42:43], 2.0, -v[78:79]
	v_fma_f64 v[52:53], v[76:77], s[6:7], v[72:73]
	v_fma_f64 v[54:55], v[78:79], s[6:7], v[74:75]
	v_add_f64 v[24:25], v[4:5], -v[24:25]
	v_add_f64 v[26:27], v[6:7], -v[26:27]
	;; [unrolled: 1-line block ×4, first 2 shown]
	v_fma_f64 v[80:81], v[0:1], 2.0, -v[20:21]
	v_fma_f64 v[82:83], v[2:3], 2.0, -v[48:49]
	v_fma_f64 v[58:59], v[46:47], s[4:5], v[38:39]
	v_fma_f64 v[56:57], v[44:45], s[4:5], v[36:37]
	v_fma_f64 v[92:93], v[70:71], s[4:5], v[22:23]
	v_fma_f64 v[94:95], v[68:69], s[6:7], v[50:51]
	v_fma_f64 v[2:3], v[8:9], 2.0, -v[16:17]
	v_fma_f64 v[10:11], v[10:11], 2.0, -v[18:19]
	v_fma_f64 v[60:61], v[40:41], s[4:5], v[32:33]
	v_fma_f64 v[62:63], v[42:43], s[4:5], v[34:35]
	v_add_f64 v[88:89], v[20:21], -v[18:19]
	v_add_f64 v[90:91], v[48:49], v[16:17]
	v_fma_f64 v[84:85], v[4:5], 2.0, -v[24:25]
	v_fma_f64 v[86:87], v[6:7], 2.0, -v[26:27]
	v_fma_f64 v[50:51], v[78:79], s[4:5], v[52:53]
	v_fma_f64 v[52:53], v[76:77], s[6:7], v[54:55]
	v_fma_f64 v[18:19], v[12:13], 2.0, -v[28:29]
	v_fma_f64 v[14:15], v[14:15], 2.0, -v[30:31]
	v_add_f64 v[30:31], v[24:25], -v[30:31]
	v_add_f64 v[28:29], v[28:29], v[26:27]
	v_fma_f64 v[8:9], v[44:45], s[6:7], v[58:59]
	v_fma_f64 v[0:1], v[46:47], s[4:5], v[56:57]
	v_fma_f64 v[6:7], v[64:65], 2.0, -v[92:93]
	v_fma_f64 v[16:17], v[66:67], 2.0, -v[94:95]
	v_add_f64 v[2:3], v[80:81], -v[2:3]
	v_add_f64 v[22:23], v[82:83], -v[10:11]
	v_fma_f64 v[42:43], v[42:43], s[4:5], v[60:61]
	v_fma_f64 v[40:41], v[40:41], s[6:7], v[62:63]
	v_fma_f64 v[4:5], v[20:21], 2.0, -v[88:89]
	v_fma_f64 v[12:13], v[48:49], 2.0, -v[90:91]
	;; [unrolled: 1-line block ×4, first 2 shown]
	v_add_f64 v[44:45], v[84:85], -v[18:19]
	v_add_f64 v[46:47], v[86:87], -v[14:15]
	v_fma_f64 v[24:25], v[24:25], 2.0, -v[30:31]
	v_fma_f64 v[26:27], v[26:27], 2.0, -v[28:29]
	v_fma_f64 v[48:49], v[30:31], s[6:7], v[88:89]
	v_fma_f64 v[56:57], v[28:29], s[6:7], v[90:91]
	;; [unrolled: 1-line block ×3, first 2 shown]
	v_fma_f64 v[20:21], v[38:39], 2.0, -v[8:9]
	v_fma_f64 v[10:11], v[36:37], 2.0, -v[0:1]
	v_fma_f64 v[36:37], v[52:53], s[10:11], v[94:95]
	v_fma_f64 v[14:15], v[80:81], 2.0, -v[2:3]
	v_fma_f64 v[18:19], v[82:83], 2.0, -v[22:23]
	;; [unrolled: 1-line block ×4, first 2 shown]
	v_fma_f64 v[80:81], v[42:43], s[18:19], v[0:1]
	v_fma_f64 v[82:83], v[40:41], s[18:19], v[8:9]
	;; [unrolled: 1-line block ×4, first 2 shown]
	v_fma_f64 v[38:39], v[84:85], 2.0, -v[44:45]
	v_fma_f64 v[62:63], v[86:87], 2.0, -v[46:47]
	v_fma_f64 v[64:65], v[24:25], s[4:5], v[4:5]
	v_fma_f64 v[66:67], v[26:27], s[4:5], v[12:13]
	;; [unrolled: 1-line block ×5, first 2 shown]
	v_add_f64 v[56:57], v[2:3], -v[46:47]
	v_add_f64 v[58:59], v[22:23], v[44:45]
	v_fma_f64 v[74:75], v[50:51], s[18:19], v[36:37]
	v_fma_f64 v[28:29], v[32:33], s[8:9], v[10:11]
	;; [unrolled: 1-line block ×5, first 2 shown]
	v_add_f64 v[48:49], v[14:15], -v[38:39]
	v_add_f64 v[50:51], v[18:19], -v[62:63]
	v_fma_f64 v[64:65], v[26:27], s[4:5], v[64:65]
	v_fma_f64 v[66:67], v[24:25], s[6:7], v[66:67]
	;; [unrolled: 1-line block ×4, first 2 shown]
	v_fma_f64 v[40:41], v[88:89], 2.0, -v[76:77]
	v_fma_f64 v[42:43], v[90:91], 2.0, -v[78:79]
	;; [unrolled: 1-line block ×4, first 2 shown]
	v_fma_f64 v[52:53], v[34:35], s[16:17], v[28:29]
	v_fma_f64 v[54:55], v[32:33], s[18:19], v[30:31]
	s_and_saveexec_b32 s4, vcc_lo
	s_cbranch_execz .LBB0_7
; %bb.6:
	v_fma_f64 v[30:31], v[18:19], 2.0, -v[50:51]
	v_fma_f64 v[28:29], v[14:15], 2.0, -v[48:49]
	s_delay_alu instid0(VALU_DEP_3)
	v_fma_f64 v[26:27], v[20:21], 2.0, -v[54:55]
	v_fma_f64 v[24:25], v[10:11], 2.0, -v[52:53]
	;; [unrolled: 1-line block ×10, first 2 shown]
	v_and_b32_e32 v0, 0xffff, v121
	s_delay_alu instid0(VALU_DEP_1)
	v_lshlrev_b32_e32 v0, 4, v0
	ds_store_b128 v0, v[40:43] offset:96
	ds_store_b128 v0, v[44:47] offset:112
	;; [unrolled: 1-line block ×8, first 2 shown]
	ds_store_b128 v0, v[28:31]
	ds_store_b128 v0, v[24:27] offset:16
	ds_store_b128 v0, v[10:13] offset:32
	;; [unrolled: 1-line block ×7, first 2 shown]
.LBB0_7:
	s_or_b32 exec_lo, exec_lo, s4
	v_and_b32_e32 v100, 15, v120
	s_load_b128 s[4:7], s[2:3], 0x0
	s_waitcnt lgkmcnt(0)
	s_barrier
	buffer_gl0_inv
	v_mad_u64_u32 v[8:9], null, 0x50, v100, s[0:1]
	s_mov_b32 s8, 0xe8584caa
	s_mov_b32 s9, 0x3febb67a
	;; [unrolled: 1-line block ×4, first 2 shown]
	s_clause 0x4
	global_load_b128 v[0:3], v[8:9], off offset:32
	global_load_b128 v[16:19], v[8:9], off offset:64
	global_load_b128 v[4:7], v[8:9], off
	global_load_b128 v[12:15], v[8:9], off offset:16
	global_load_b128 v[8:11], v[8:9], off offset:48
	ds_load_b128 v[20:23], v119 offset:4608
	ds_load_b128 v[24:27], v119 offset:7680
	;; [unrolled: 1-line block ×3, first 2 shown]
	s_waitcnt vmcnt(4) lgkmcnt(2)
	v_mul_f64 v[32:33], v[22:23], v[2:3]
	v_mul_f64 v[34:35], v[20:21], v[2:3]
	s_waitcnt vmcnt(3) lgkmcnt(1)
	v_mul_f64 v[36:37], v[24:25], v[18:19]
	v_mul_f64 v[38:39], v[26:27], v[18:19]
	;; [unrolled: 3-line block ×3, first 2 shown]
	v_fma_f64 v[32:33], v[20:21], v[0:1], -v[32:33]
	v_fma_f64 v[34:35], v[22:23], v[0:1], v[34:35]
	v_fma_f64 v[36:37], v[26:27], v[16:17], v[36:37]
	v_fma_f64 v[38:39], v[24:25], v[16:17], -v[38:39]
	ds_load_b128 v[20:23], v119 offset:3072
	ds_load_b128 v[24:27], v119 offset:6144
	v_fma_f64 v[28:29], v[28:29], v[4:5], -v[80:81]
	v_fma_f64 v[30:31], v[30:31], v[4:5], v[82:83]
	s_waitcnt vmcnt(1) lgkmcnt(1)
	v_mul_f64 v[84:85], v[22:23], v[14:15]
	v_mul_f64 v[86:87], v[20:21], v[14:15]
	s_waitcnt vmcnt(0) lgkmcnt(0)
	v_mul_f64 v[88:89], v[26:27], v[10:11]
	v_mul_f64 v[90:91], v[24:25], v[10:11]
	v_add_f64 v[80:81], v[34:35], v[36:37]
	v_add_f64 v[82:83], v[32:33], v[38:39]
	v_fma_f64 v[84:85], v[20:21], v[12:13], -v[84:85]
	v_fma_f64 v[86:87], v[22:23], v[12:13], v[86:87]
	v_fma_f64 v[24:25], v[24:25], v[8:9], -v[88:89]
	v_fma_f64 v[26:27], v[26:27], v[8:9], v[90:91]
	v_add_f64 v[20:21], v[34:35], -v[36:37]
	v_add_f64 v[22:23], v[32:33], -v[38:39]
	v_fma_f64 v[80:81], v[80:81], -0.5, v[30:31]
	v_fma_f64 v[82:83], v[82:83], -0.5, v[28:29]
	v_add_f64 v[28:29], v[28:29], v[32:33]
	v_add_f64 v[30:31], v[30:31], v[34:35]
	;; [unrolled: 1-line block ×4, first 2 shown]
	v_add_f64 v[98:99], v[86:87], -v[26:27]
	v_add_f64 v[32:33], v[84:85], -v[24:25]
	v_fma_f64 v[92:93], v[22:23], s[2:3], v[80:81]
	v_fma_f64 v[94:95], v[20:21], s[2:3], v[82:83]
	;; [unrolled: 1-line block ×4, first 2 shown]
	ds_load_b128 v[20:23], v119
	v_add_f64 v[28:29], v[28:29], v[38:39]
	v_add_f64 v[30:31], v[30:31], v[36:37]
	s_waitcnt lgkmcnt(0)
	s_barrier
	buffer_gl0_inv
	v_add_f64 v[96:97], v[20:21], v[84:85]
	v_add_f64 v[86:87], v[22:23], v[86:87]
	v_fma_f64 v[20:21], v[88:89], -0.5, v[20:21]
	v_fma_f64 v[22:23], v[90:91], -0.5, v[22:23]
	v_mul_f64 v[34:35], v[92:93], s[8:9]
	v_mul_f64 v[84:85], v[94:95], -0.5
	v_mul_f64 v[88:89], v[82:83], s[2:3]
	v_mul_f64 v[90:91], v[80:81], -0.5
	v_add_f64 v[24:25], v[96:97], v[24:25]
	v_add_f64 v[26:27], v[86:87], v[26:27]
	v_fma_f64 v[36:37], v[98:99], s[8:9], v[20:21]
	v_fma_f64 v[86:87], v[32:33], s[2:3], v[22:23]
	;; [unrolled: 1-line block ×4, first 2 shown]
	v_fma_f64 v[82:83], v[82:83], 0.5, v[34:35]
	v_fma_f64 v[80:81], v[80:81], s[8:9], v[84:85]
	v_fma_f64 v[84:85], v[92:93], 0.5, v[88:89]
	v_fma_f64 v[88:89], v[94:95], s[2:3], v[90:91]
	v_add_f64 v[20:21], v[24:25], v[28:29]
	v_add_f64 v[22:23], v[26:27], v[30:31]
	v_add_f64 v[24:25], v[24:25], -v[28:29]
	v_add_f64 v[26:27], v[26:27], -v[30:31]
	v_add_f64 v[28:29], v[36:37], v[82:83]
	v_add_f64 v[32:33], v[38:39], v[80:81]
	;; [unrolled: 1-line block ×4, first 2 shown]
	v_add_f64 v[36:37], v[36:37], -v[82:83]
	v_add_f64 v[80:81], v[38:39], -v[80:81]
	;; [unrolled: 1-line block ×4, first 2 shown]
	v_lshrrev_b32_e32 v84, 4, v120
	s_delay_alu instid0(VALU_DEP_1) | instskip(NEXT) | instid1(VALU_DEP_1)
	v_mul_u32_u24_e32 v84, 0x60, v84
	v_or_b32_e32 v84, v84, v100
	s_delay_alu instid0(VALU_DEP_1)
	v_lshlrev_b32_e32 v122, 4, v84
	v_mad_u64_u32 v[84:85], null, 0x50, v120, s[0:1]
	ds_store_b128 v122, v[20:23]
	ds_store_b128 v122, v[28:31] offset:256
	ds_store_b128 v122, v[32:35] offset:512
	;; [unrolled: 1-line block ×5, first 2 shown]
	s_waitcnt lgkmcnt(0)
	s_barrier
	buffer_gl0_inv
	s_clause 0x4
	global_load_b128 v[20:23], v[84:85], off offset:1312
	global_load_b128 v[36:39], v[84:85], off offset:1344
	;; [unrolled: 1-line block ×5, first 2 shown]
	ds_load_b128 v[80:83], v119 offset:4608
	ds_load_b128 v[84:87], v119 offset:7680
	ds_load_b128 v[88:91], v119 offset:1536
	s_waitcnt vmcnt(4) lgkmcnt(2)
	v_mul_f64 v[92:93], v[82:83], v[22:23]
	v_mul_f64 v[94:95], v[80:81], v[22:23]
	s_waitcnt vmcnt(3) lgkmcnt(1)
	v_mul_f64 v[96:97], v[84:85], v[38:39]
	v_mul_f64 v[98:99], v[86:87], v[38:39]
	;; [unrolled: 3-line block ×3, first 2 shown]
	v_fma_f64 v[92:93], v[80:81], v[20:21], -v[92:93]
	v_fma_f64 v[94:95], v[82:83], v[20:21], v[94:95]
	v_fma_f64 v[96:97], v[86:87], v[36:37], v[96:97]
	v_fma_f64 v[98:99], v[84:85], v[36:37], -v[98:99]
	ds_load_b128 v[80:83], v119 offset:3072
	ds_load_b128 v[84:87], v119 offset:6144
	v_fma_f64 v[88:89], v[88:89], v[24:25], -v[100:101]
	v_fma_f64 v[90:91], v[90:91], v[24:25], v[102:103]
	s_waitcnt vmcnt(1) lgkmcnt(1)
	v_mul_f64 v[104:105], v[82:83], v[34:35]
	v_mul_f64 v[106:107], v[80:81], v[34:35]
	s_waitcnt vmcnt(0) lgkmcnt(0)
	v_mul_f64 v[108:109], v[86:87], v[30:31]
	v_mul_f64 v[110:111], v[84:85], v[30:31]
	v_add_f64 v[100:101], v[94:95], v[96:97]
	v_add_f64 v[102:103], v[92:93], v[98:99]
	v_fma_f64 v[104:105], v[80:81], v[32:33], -v[104:105]
	v_fma_f64 v[106:107], v[82:83], v[32:33], v[106:107]
	v_fma_f64 v[84:85], v[84:85], v[28:29], -v[108:109]
	v_fma_f64 v[86:87], v[86:87], v[28:29], v[110:111]
	v_add_f64 v[80:81], v[94:95], -v[96:97]
	v_add_f64 v[82:83], v[92:93], -v[98:99]
	v_fma_f64 v[100:101], v[100:101], -0.5, v[90:91]
	v_fma_f64 v[102:103], v[102:103], -0.5, v[88:89]
	v_add_f64 v[88:89], v[88:89], v[92:93]
	v_add_f64 v[90:91], v[90:91], v[94:95]
	;; [unrolled: 1-line block ×4, first 2 shown]
	v_add_f64 v[123:124], v[106:107], -v[86:87]
	v_add_f64 v[92:93], v[104:105], -v[84:85]
	v_fma_f64 v[112:113], v[82:83], s[2:3], v[100:101]
	v_fma_f64 v[114:115], v[80:81], s[2:3], v[102:103]
	;; [unrolled: 1-line block ×4, first 2 shown]
	ds_load_b128 v[80:83], v119
	v_add_f64 v[88:89], v[88:89], v[98:99]
	v_add_f64 v[90:91], v[90:91], v[96:97]
	s_waitcnt lgkmcnt(0)
	v_add_f64 v[117:118], v[80:81], v[104:105]
	v_add_f64 v[106:107], v[82:83], v[106:107]
	v_fma_f64 v[80:81], v[108:109], -0.5, v[80:81]
	v_fma_f64 v[82:83], v[110:111], -0.5, v[82:83]
	v_mul_f64 v[94:95], v[112:113], s[8:9]
	v_mul_f64 v[104:105], v[114:115], -0.5
	v_mul_f64 v[108:109], v[102:103], s[2:3]
	v_mul_f64 v[110:111], v[100:101], -0.5
	v_add_f64 v[84:85], v[117:118], v[84:85]
	v_add_f64 v[86:87], v[106:107], v[86:87]
	v_fma_f64 v[96:97], v[123:124], s[8:9], v[80:81]
	v_fma_f64 v[98:99], v[123:124], s[2:3], v[80:81]
	v_fma_f64 v[106:107], v[92:93], s[2:3], v[82:83]
	v_fma_f64 v[117:118], v[92:93], s[8:9], v[82:83]
	v_fma_f64 v[102:103], v[102:103], 0.5, v[94:95]
	v_fma_f64 v[100:101], v[100:101], s[8:9], v[104:105]
	v_fma_f64 v[104:105], v[112:113], 0.5, v[108:109]
	v_fma_f64 v[108:109], v[114:115], s[2:3], v[110:111]
	v_add_f64 v[80:81], v[84:85], v[88:89]
	v_add_f64 v[82:83], v[86:87], v[90:91]
	v_add_f64 v[88:89], v[84:85], -v[88:89]
	v_add_f64 v[90:91], v[86:87], -v[90:91]
	v_add_f64 v[84:85], v[96:97], v[102:103]
	v_add_f64 v[92:93], v[98:99], v[100:101]
	;; [unrolled: 1-line block ×4, first 2 shown]
	v_add_f64 v[96:97], v[96:97], -v[102:103]
	v_add_f64 v[100:101], v[98:99], -v[100:101]
	;; [unrolled: 1-line block ×4, first 2 shown]
	ds_store_b128 v119, v[80:83]
	ds_store_b128 v119, v[84:87] offset:1536
	ds_store_b128 v119, v[92:95] offset:3072
	;; [unrolled: 1-line block ×5, first 2 shown]
	s_waitcnt lgkmcnt(0)
	s_barrier
	buffer_gl0_inv
	s_and_saveexec_b32 s1, vcc_lo
	s_cbranch_execz .LBB0_9
; %bb.8:
	v_add_co_u32 v123, s0, s14, v119
	s_delay_alu instid0(VALU_DEP_1) | instskip(NEXT) | instid1(VALU_DEP_2)
	v_add_co_ci_u32_e64 v124, null, s15, 0, s0
	v_add_co_u32 v104, s0, 0x2000, v123
	s_delay_alu instid0(VALU_DEP_1) | instskip(SKIP_1) | instid1(VALU_DEP_1)
	v_add_co_ci_u32_e64 v105, s0, 0, v124, s0
	v_add_co_u32 v117, s0, 0x2400, v123
	v_add_co_ci_u32_e64 v118, s0, 0, v124, s0
	s_clause 0x4
	global_load_b128 v[104:107], v[104:105], off offset:1024
	global_load_b128 v[108:111], v[117:118], off offset:576
	;; [unrolled: 1-line block ×5, first 2 shown]
	ds_load_b128 v[133:136], v119
	ds_load_b128 v[137:140], v119 offset:576
	global_load_b128 v[141:144], v[117:118], off offset:4032
	s_waitcnt vmcnt(5) lgkmcnt(1)
	v_mul_f64 v[145:146], v[135:136], v[106:107]
	v_mul_f64 v[106:107], v[133:134], v[106:107]
	s_delay_alu instid0(VALU_DEP_2) | instskip(SKIP_3) | instid1(VALU_DEP_4)
	v_fma_f64 v[133:134], v[133:134], v[104:105], -v[145:146]
	s_waitcnt vmcnt(4) lgkmcnt(0)
	v_mul_f64 v[145:146], v[139:140], v[110:111]
	v_mul_f64 v[110:111], v[137:138], v[110:111]
	v_fma_f64 v[135:136], v[135:136], v[104:105], v[106:107]
	ds_load_b128 v[104:107], v119 offset:1152
	v_fma_f64 v[137:138], v[137:138], v[108:109], -v[145:146]
	v_fma_f64 v[139:140], v[139:140], v[108:109], v[110:111]
	ds_load_b128 v[108:111], v119 offset:1728
	s_waitcnt vmcnt(3) lgkmcnt(1)
	v_mul_f64 v[145:146], v[106:107], v[114:115]
	v_mul_f64 v[114:115], v[104:105], v[114:115]
	s_delay_alu instid0(VALU_DEP_2) | instskip(SKIP_3) | instid1(VALU_DEP_4)
	v_fma_f64 v[104:105], v[104:105], v[112:113], -v[145:146]
	s_waitcnt vmcnt(2) lgkmcnt(0)
	v_mul_f64 v[145:146], v[110:111], v[127:128]
	v_mul_f64 v[127:128], v[108:109], v[127:128]
	v_fma_f64 v[106:107], v[106:107], v[112:113], v[114:115]
	ds_load_b128 v[112:115], v119 offset:2304
	v_fma_f64 v[108:109], v[108:109], v[125:126], -v[145:146]
	v_fma_f64 v[110:111], v[110:111], v[125:126], v[127:128]
	ds_load_b128 v[125:128], v119 offset:2880
	s_waitcnt vmcnt(1) lgkmcnt(1)
	v_mul_f64 v[145:146], v[114:115], v[131:132]
	v_mul_f64 v[131:132], v[112:113], v[131:132]
	s_delay_alu instid0(VALU_DEP_2) | instskip(NEXT) | instid1(VALU_DEP_2)
	v_fma_f64 v[112:113], v[112:113], v[129:130], -v[145:146]
	v_fma_f64 v[114:115], v[114:115], v[129:130], v[131:132]
	s_clause 0x1
	global_load_b128 v[129:132], v[117:118], off offset:2880
	global_load_b128 v[145:148], v[117:118], off offset:3456
	s_waitcnt vmcnt(1) lgkmcnt(0)
	v_mul_f64 v[117:118], v[127:128], v[131:132]
	v_mul_f64 v[131:132], v[125:126], v[131:132]
	s_delay_alu instid0(VALU_DEP_2) | instskip(NEXT) | instid1(VALU_DEP_2)
	v_fma_f64 v[125:126], v[125:126], v[129:130], -v[117:118]
	v_fma_f64 v[127:128], v[127:128], v[129:130], v[131:132]
	ds_load_b128 v[129:132], v119 offset:3456
	ds_load_b128 v[149:152], v119 offset:4032
	s_waitcnt vmcnt(0) lgkmcnt(1)
	v_mul_f64 v[117:118], v[131:132], v[147:148]
	v_mul_f64 v[147:148], v[129:130], v[147:148]
	s_delay_alu instid0(VALU_DEP_2) | instskip(SKIP_2) | instid1(VALU_DEP_3)
	v_fma_f64 v[129:130], v[129:130], v[145:146], -v[117:118]
	s_waitcnt lgkmcnt(0)
	v_mul_f64 v[117:118], v[151:152], v[143:144]
	v_fma_f64 v[131:132], v[131:132], v[145:146], v[147:148]
	v_mul_f64 v[145:146], v[149:150], v[143:144]
	s_delay_alu instid0(VALU_DEP_3) | instskip(SKIP_1) | instid1(VALU_DEP_1)
	v_fma_f64 v[143:144], v[149:150], v[141:142], -v[117:118]
	v_add_co_u32 v117, s0, 0x3000, v123
	v_add_co_ci_u32_e64 v118, s0, 0, v124, s0
	s_delay_alu instid0(VALU_DEP_4)
	v_fma_f64 v[145:146], v[151:152], v[141:142], v[145:146]
	s_clause 0x1
	global_load_b128 v[147:150], v[117:118], off offset:1536
	global_load_b128 v[151:154], v[117:118], off offset:2112
	ds_load_b128 v[155:158], v119 offset:4608
	ds_load_b128 v[159:162], v119 offset:5184
	v_add_co_u32 v123, s0, 0x4000, v123
	s_delay_alu instid0(VALU_DEP_1) | instskip(SKIP_3) | instid1(VALU_DEP_2)
	v_add_co_ci_u32_e64 v124, s0, 0, v124, s0
	s_waitcnt vmcnt(1) lgkmcnt(1)
	v_mul_f64 v[141:142], v[157:158], v[149:150]
	v_mul_f64 v[149:150], v[155:156], v[149:150]
	v_fma_f64 v[155:156], v[155:156], v[147:148], -v[141:142]
	s_delay_alu instid0(VALU_DEP_2) | instskip(SKIP_3) | instid1(VALU_DEP_2)
	v_fma_f64 v[157:158], v[157:158], v[147:148], v[149:150]
	s_waitcnt vmcnt(0) lgkmcnt(0)
	v_mul_f64 v[141:142], v[161:162], v[153:154]
	v_mul_f64 v[149:150], v[159:160], v[153:154]
	v_fma_f64 v[147:148], v[159:160], v[151:152], -v[141:142]
	s_delay_alu instid0(VALU_DEP_2)
	v_fma_f64 v[149:150], v[161:162], v[151:152], v[149:150]
	s_clause 0x1
	global_load_b128 v[151:154], v[117:118], off offset:2688
	global_load_b128 v[159:162], v[117:118], off offset:3264
	ds_load_b128 v[163:166], v119 offset:5760
	ds_load_b128 v[167:170], v119 offset:6336
	s_waitcnt vmcnt(1) lgkmcnt(1)
	v_mul_f64 v[141:142], v[165:166], v[153:154]
	v_mul_f64 v[153:154], v[163:164], v[153:154]
	s_delay_alu instid0(VALU_DEP_2) | instskip(NEXT) | instid1(VALU_DEP_2)
	v_fma_f64 v[163:164], v[163:164], v[151:152], -v[141:142]
	v_fma_f64 v[165:166], v[165:166], v[151:152], v[153:154]
	s_waitcnt vmcnt(0) lgkmcnt(0)
	v_mul_f64 v[141:142], v[169:170], v[161:162]
	v_mul_f64 v[153:154], v[167:168], v[161:162]
	s_delay_alu instid0(VALU_DEP_2) | instskip(NEXT) | instid1(VALU_DEP_2)
	v_fma_f64 v[151:152], v[167:168], v[159:160], -v[141:142]
	v_fma_f64 v[153:154], v[169:170], v[159:160], v[153:154]
	s_clause 0x1
	global_load_b128 v[159:162], v[117:118], off offset:3840
	global_load_b128 v[167:170], v[123:124], off offset:320
	ds_load_b128 v[171:174], v119 offset:6912
	ds_load_b128 v[175:178], v119 offset:7488
	s_waitcnt vmcnt(1) lgkmcnt(1)
	v_mul_f64 v[117:118], v[173:174], v[161:162]
	v_mul_f64 v[141:142], v[171:172], v[161:162]
	s_delay_alu instid0(VALU_DEP_2) | instskip(NEXT) | instid1(VALU_DEP_2)
	v_fma_f64 v[171:172], v[171:172], v[159:160], -v[117:118]
	v_fma_f64 v[173:174], v[173:174], v[159:160], v[141:142]
	s_waitcnt vmcnt(0) lgkmcnt(0)
	v_mul_f64 v[117:118], v[177:178], v[169:170]
	v_mul_f64 v[141:142], v[175:176], v[169:170]
	s_delay_alu instid0(VALU_DEP_2) | instskip(NEXT) | instid1(VALU_DEP_2)
	v_fma_f64 v[159:160], v[175:176], v[167:168], -v[117:118]
	;; [unrolled: 17-line block ×3, first 2 shown]
	v_fma_f64 v[169:170], v[185:186], v[175:176], v[123:124]
	ds_store_b128 v119, v[133:136]
	ds_store_b128 v119, v[137:140] offset:576
	ds_store_b128 v119, v[104:107] offset:1152
	;; [unrolled: 1-line block ×15, first 2 shown]
.LBB0_9:
	s_or_b32 exec_lo, exec_lo, s1
	s_waitcnt lgkmcnt(0)
	s_barrier
	buffer_gl0_inv
	s_and_saveexec_b32 s0, vcc_lo
	s_cbranch_execz .LBB0_11
; %bb.10:
	ds_load_b128 v[80:83], v119
	ds_load_b128 v[84:87], v119 offset:576
	ds_load_b128 v[92:95], v119 offset:1152
	;; [unrolled: 1-line block ×15, first 2 shown]
.LBB0_11:
	s_or_b32 exec_lo, exec_lo, s0
	s_waitcnt lgkmcnt(0)
	s_barrier
	buffer_gl0_inv
	s_and_saveexec_b32 s8, vcc_lo
	s_cbranch_execz .LBB0_13
; %bb.12:
	v_add_f64 v[66:67], v[94:95], -v[66:67]
	v_add_f64 v[76:77], v[40:41], -v[76:77]
	;; [unrolled: 1-line block ×16, first 2 shown]
	s_mov_b32 s0, 0x667f3bcd
	s_mov_b32 s1, 0x3fe6a09e
	;; [unrolled: 1-line block ×9, first 2 shown]
	v_add_f64 v[106:107], v[66:67], -v[76:77]
	v_fma_f64 v[82:83], v[82:83], 2.0, -v[50:51]
	v_add_f64 v[104:105], v[50:51], -v[56:57]
	v_fma_f64 v[40:41], v[40:41], 2.0, -v[76:77]
	v_add_f64 v[108:109], v[78:79], v[64:65]
	v_fma_f64 v[92:93], v[92:93], 2.0, -v[64:65]
	v_add_f64 v[112:113], v[62:63], -v[72:73]
	v_fma_f64 v[42:43], v[42:43], 2.0, -v[78:79]
	v_add_f64 v[110:111], v[54:55], -v[68:69]
	v_fma_f64 v[68:69], v[100:101], 2.0, -v[68:69]
	v_add_f64 v[114:115], v[74:75], v[60:61]
	v_fma_f64 v[76:77], v[88:89], 2.0, -v[60:61]
	v_add_f64 v[117:118], v[70:71], v[52:53]
	;; [unrolled: 2-line block ×3, first 2 shown]
	v_fma_f64 v[58:59], v[98:99], 2.0, -v[58:59]
	v_fma_f64 v[88:89], v[94:95], 2.0, -v[66:67]
	;; [unrolled: 1-line block ×11, first 2 shown]
	v_fma_f64 v[80:81], v[106:107], s[0:1], v[104:105]
	v_fma_f64 v[64:65], v[64:65], 2.0, -v[108:109]
	v_add_f64 v[40:41], v[92:93], -v[40:41]
	v_fma_f64 v[62:63], v[62:63], 2.0, -v[112:113]
	v_fma_f64 v[54:55], v[54:55], 2.0, -v[110:111]
	v_fma_f64 v[86:87], v[112:113], s[0:1], v[110:111]
	v_fma_f64 v[60:61], v[60:61], 2.0, -v[114:115]
	v_fma_f64 v[52:53], v[52:53], 2.0, -v[117:118]
	v_add_f64 v[68:69], v[84:85], -v[68:69]
	v_fma_f64 v[48:49], v[48:49], 2.0, -v[123:124]
	v_add_f64 v[58:59], v[82:83], -v[58:59]
	v_add_f64 v[42:43], v[88:89], -v[42:43]
	;; [unrolled: 1-line block ×3, first 2 shown]
	v_fma_f64 v[90:91], v[114:115], s[0:1], v[117:118]
	v_fma_f64 v[94:95], v[108:109], s[0:1], v[123:124]
	v_add_f64 v[70:71], v[72:73], -v[70:71]
	v_add_f64 v[46:47], v[78:79], -v[46:47]
	v_add_f64 v[56:57], v[74:75], -v[56:57]
	v_fma_f64 v[96:97], v[66:67], s[2:3], v[50:51]
	v_fma_f64 v[80:81], v[108:109], s[2:3], v[80:81]
	;; [unrolled: 1-line block ×5, first 2 shown]
	v_fma_f64 v[84:85], v[84:85], 2.0, -v[68:69]
	v_fma_f64 v[102:103], v[64:65], s[2:3], v[48:49]
	v_fma_f64 v[82:83], v[82:83], 2.0, -v[58:59]
	v_fma_f64 v[88:89], v[88:89], 2.0, -v[42:43]
	;; [unrolled: 1-line block ×3, first 2 shown]
	v_fma_f64 v[90:91], v[112:113], s[0:1], v[90:91]
	v_fma_f64 v[94:95], v[106:107], s[0:1], v[94:95]
	v_add_f64 v[106:107], v[58:59], -v[40:41]
	v_add_f64 v[44:45], v[70:71], -v[44:45]
	v_add_f64 v[108:109], v[46:47], v[68:69]
	v_add_f64 v[112:113], v[56:57], v[42:43]
	v_fma_f64 v[42:43], v[74:75], 2.0, -v[56:57]
	v_fma_f64 v[40:41], v[92:93], 2.0, -v[40:41]
	v_fma_f64 v[72:73], v[72:73], 2.0, -v[70:71]
	v_fma_f64 v[46:47], v[78:79], 2.0, -v[46:47]
	v_fma_f64 v[92:93], v[64:65], s[2:3], v[96:97]
	v_fma_f64 v[60:61], v[60:61], s[2:3], v[98:99]
	v_fma_f64 v[98:99], v[104:105], 2.0, -v[80:81]
	v_fma_f64 v[62:63], v[62:63], s[0:1], v[100:101]
	v_fma_f64 v[96:97], v[66:67], s[0:1], v[102:103]
	v_fma_f64 v[66:67], v[110:111], 2.0, -v[86:87]
	v_add_f64 v[88:89], v[82:83], -v[88:89]
	v_add_f64 v[64:65], v[84:85], -v[76:77]
	v_fma_f64 v[74:75], v[117:118], 2.0, -v[90:91]
	v_fma_f64 v[104:105], v[123:124], 2.0, -v[94:95]
	;; [unrolled: 1-line block ×6, first 2 shown]
	v_add_f64 v[110:111], v[42:43], -v[40:41]
	v_fma_f64 v[40:41], v[86:87], s[10:11], v[80:81]
	v_add_f64 v[56:57], v[72:73], -v[46:47]
	v_fma_f64 v[46:47], v[44:45], s[0:1], v[106:107]
	v_fma_f64 v[114:115], v[50:51], 2.0, -v[92:93]
	v_fma_f64 v[50:51], v[90:91], s[10:11], v[94:95]
	v_fma_f64 v[68:69], v[54:55], 2.0, -v[60:61]
	;; [unrolled: 2-line block ×3, first 2 shown]
	v_fma_f64 v[117:118], v[48:49], 2.0, -v[96:97]
	v_fma_f64 v[48:49], v[108:109], s[0:1], v[112:113]
	v_fma_f64 v[52:53], v[66:67], s[16:17], v[98:99]
	;; [unrolled: 1-line block ×3, first 2 shown]
	v_fma_f64 v[131:132], v[82:83], 2.0, -v[88:89]
	v_fma_f64 v[129:130], v[74:75], s[16:17], v[104:105]
	v_fma_f64 v[82:83], v[84:85], 2.0, -v[64:65]
	v_fma_f64 v[125:126], v[70:71], s[2:3], v[100:101]
	v_fma_f64 v[127:128], v[58:59], s[2:3], v[102:103]
	v_fma_f64 v[133:134], v[42:43], 2.0, -v[110:111]
	v_fma_f64 v[42:43], v[90:91], s[16:17], v[40:41]
	v_fma_f64 v[72:73], v[72:73], 2.0, -v[56:57]
	v_fma_f64 v[46:47], v[108:109], s[2:3], v[46:47]
	v_fma_f64 v[40:41], v[86:87], s[18:19], v[50:51]
	v_add_f64 v[50:51], v[88:89], -v[64:65]
	v_fma_f64 v[84:85], v[68:69], s[20:21], v[114:115]
	v_fma_f64 v[62:63], v[62:63], s[20:21], v[78:79]
	;; [unrolled: 1-line block ×4, first 2 shown]
	v_add_f64 v[48:49], v[110:111], v[56:57]
	v_fma_f64 v[54:55], v[74:75], s[20:21], v[52:53]
	v_fma_f64 v[60:61], v[60:61], s[10:11], v[123:124]
	v_fma_f64 v[52:53], v[66:67], s[10:11], v[129:130]
	v_fma_f64 v[58:59], v[58:59], s[2:3], v[125:126]
	v_fma_f64 v[56:57], v[70:71], s[0:1], v[127:128]
	v_add_f64 v[64:65], v[133:134], -v[82:83]
	v_fma_f64 v[74:75], v[80:81], 2.0, -v[42:43]
	v_add_f64 v[66:67], v[131:132], -v[72:73]
	v_fma_f64 v[78:79], v[106:107], 2.0, -v[46:47]
	v_fma_f64 v[72:73], v[94:95], 2.0, -v[40:41]
	;; [unrolled: 1-line block ×3, first 2 shown]
	v_fma_f64 v[70:71], v[76:77], s[16:17], v[84:85]
	v_fma_f64 v[94:95], v[92:93], 2.0, -v[62:63]
	v_fma_f64 v[68:69], v[68:69], s[18:19], v[135:136]
	v_fma_f64 v[76:77], v[112:113], 2.0, -v[44:45]
	v_fma_f64 v[80:81], v[110:111], 2.0, -v[48:49]
	;; [unrolled: 1-line block ×5, first 2 shown]
	v_and_b32_e32 v104, 0xffff, v121
	v_fma_f64 v[90:91], v[100:101], 2.0, -v[58:59]
	v_fma_f64 v[88:89], v[102:103], 2.0, -v[56:57]
	;; [unrolled: 1-line block ×3, first 2 shown]
	s_delay_alu instid0(VALU_DEP_4)
	v_lshlrev_b32_e32 v104, 4, v104
	v_fma_f64 v[98:99], v[131:132], 2.0, -v[66:67]
	v_fma_f64 v[102:103], v[114:115], 2.0, -v[70:71]
	;; [unrolled: 1-line block ×3, first 2 shown]
	ds_store_b128 v104, v[76:79] offset:96
	ds_store_b128 v104, v[72:75] offset:112
	;; [unrolled: 1-line block ×12, first 2 shown]
	ds_store_b128 v104, v[96:99]
	ds_store_b128 v104, v[100:103] offset:16
	ds_store_b128 v104, v[44:47] offset:224
	;; [unrolled: 1-line block ×3, first 2 shown]
.LBB0_13:
	s_or_b32 exec_lo, exec_lo, s8
	s_waitcnt lgkmcnt(0)
	s_barrier
	buffer_gl0_inv
	ds_load_b128 v[40:43], v119 offset:4608
	ds_load_b128 v[44:47], v119 offset:7680
	;; [unrolled: 1-line block ×3, first 2 shown]
	s_mov_b32 s2, 0xe8584caa
	s_mov_b32 s3, 0xbfebb67a
	s_mov_b32 s1, 0x3febb67a
	s_mov_b32 s0, s2
	s_waitcnt lgkmcnt(2)
	v_mul_f64 v[52:53], v[2:3], v[40:41]
	s_waitcnt lgkmcnt(1)
	v_mul_f64 v[54:55], v[18:19], v[44:45]
	;; [unrolled: 2-line block ×3, first 2 shown]
	v_mul_f64 v[2:3], v[2:3], v[42:43]
	v_mul_f64 v[18:19], v[18:19], v[46:47]
	;; [unrolled: 1-line block ×3, first 2 shown]
	v_fma_f64 v[42:43], v[0:1], v[42:43], -v[52:53]
	v_fma_f64 v[46:47], v[16:17], v[46:47], -v[54:55]
	ds_load_b128 v[52:55], v119 offset:3072
	ds_load_b128 v[56:59], v119 offset:6144
	v_fma_f64 v[40:41], v[0:1], v[40:41], v[2:3]
	v_fma_f64 v[16:17], v[16:17], v[44:45], v[18:19]
	v_fma_f64 v[18:19], v[4:5], v[50:51], -v[60:61]
	v_fma_f64 v[4:5], v[4:5], v[48:49], v[6:7]
	s_waitcnt lgkmcnt(1)
	v_mul_f64 v[62:63], v[14:15], v[54:55]
	v_mul_f64 v[14:15], v[14:15], v[52:53]
	s_waitcnt lgkmcnt(0)
	v_mul_f64 v[64:65], v[10:11], v[58:59]
	v_mul_f64 v[10:11], v[10:11], v[56:57]
	v_add_f64 v[0:1], v[42:43], v[46:47]
	v_add_f64 v[50:51], v[42:43], -v[46:47]
	v_add_f64 v[2:3], v[40:41], v[16:17]
	v_add_f64 v[6:7], v[40:41], -v[16:17]
	v_fma_f64 v[44:45], v[12:13], v[52:53], v[62:63]
	v_fma_f64 v[12:13], v[12:13], v[54:55], -v[14:15]
	v_fma_f64 v[14:15], v[8:9], v[56:57], v[64:65]
	v_fma_f64 v[8:9], v[8:9], v[58:59], -v[10:11]
	v_fma_f64 v[0:1], v[0:1], -0.5, v[18:19]
	v_add_f64 v[18:19], v[18:19], v[42:43]
	v_fma_f64 v[52:53], v[2:3], -0.5, v[4:5]
	v_add_f64 v[4:5], v[4:5], v[40:41]
	v_add_f64 v[10:11], v[44:45], v[14:15]
	;; [unrolled: 1-line block ×3, first 2 shown]
	v_add_f64 v[58:59], v[12:13], -v[8:9]
	v_fma_f64 v[54:55], v[6:7], s[0:1], v[0:1]
	v_fma_f64 v[6:7], v[6:7], s[2:3], v[0:1]
	ds_load_b128 v[0:3], v119
	v_fma_f64 v[40:41], v[50:51], s[0:1], v[52:53]
	v_add_f64 v[4:5], v[4:5], v[16:17]
	s_waitcnt lgkmcnt(0)
	s_barrier
	buffer_gl0_inv
	v_add_f64 v[56:57], v[0:1], v[44:45]
	v_add_f64 v[12:13], v[2:3], v[12:13]
	v_add_f64 v[44:45], v[44:45], -v[14:15]
	v_fma_f64 v[0:1], v[10:11], -0.5, v[0:1]
	v_fma_f64 v[2:3], v[48:49], -0.5, v[2:3]
	v_fma_f64 v[10:11], v[50:51], s[2:3], v[52:53]
	v_mul_f64 v[42:43], v[54:55], s[2:3]
	v_mul_f64 v[50:51], v[54:55], 0.5
	v_mul_f64 v[48:49], v[6:7], s[2:3]
	v_mul_f64 v[6:7], v[6:7], -0.5
	v_add_f64 v[14:15], v[56:57], v[14:15]
	v_add_f64 v[8:9], v[12:13], v[8:9]
	v_add_f64 v[12:13], v[18:19], v[46:47]
	v_fma_f64 v[16:17], v[58:59], s[2:3], v[0:1]
	v_fma_f64 v[46:47], v[44:45], s[0:1], v[2:3]
	;; [unrolled: 1-line block ×4, first 2 shown]
	v_fma_f64 v[42:43], v[10:11], 0.5, v[42:43]
	v_fma_f64 v[50:51], v[10:11], s[0:1], v[50:51]
	v_fma_f64 v[48:49], v[40:41], -0.5, v[48:49]
	v_fma_f64 v[52:53], v[40:41], s[0:1], v[6:7]
	v_add_f64 v[0:1], v[14:15], v[4:5]
	v_add_f64 v[4:5], v[14:15], -v[4:5]
	v_add_f64 v[2:3], v[8:9], v[12:13]
	v_add_f64 v[6:7], v[8:9], -v[12:13]
	v_add_f64 v[8:9], v[16:17], v[42:43]
	v_add_f64 v[10:11], v[46:47], v[50:51]
	;; [unrolled: 1-line block ×4, first 2 shown]
	v_add_f64 v[16:17], v[16:17], -v[42:43]
	v_add_f64 v[40:41], v[18:19], -v[48:49]
	;; [unrolled: 1-line block ×4, first 2 shown]
	ds_store_b128 v122, v[0:3]
	ds_store_b128 v122, v[8:11] offset:256
	ds_store_b128 v122, v[12:15] offset:512
	;; [unrolled: 1-line block ×5, first 2 shown]
	s_waitcnt lgkmcnt(0)
	s_barrier
	buffer_gl0_inv
	ds_load_b128 v[0:3], v119 offset:4608
	ds_load_b128 v[4:7], v119 offset:7680
	;; [unrolled: 1-line block ×3, first 2 shown]
	s_waitcnt lgkmcnt(2)
	v_mul_f64 v[12:13], v[22:23], v[0:1]
	s_waitcnt lgkmcnt(1)
	v_mul_f64 v[14:15], v[38:39], v[4:5]
	;; [unrolled: 2-line block ×3, first 2 shown]
	v_mul_f64 v[22:23], v[22:23], v[2:3]
	v_mul_f64 v[38:39], v[38:39], v[6:7]
	v_fma_f64 v[42:43], v[20:21], v[2:3], -v[12:13]
	v_fma_f64 v[6:7], v[36:37], v[6:7], -v[14:15]
	ds_load_b128 v[12:15], v119 offset:3072
	ds_load_b128 v[16:19], v119 offset:6144
	v_mul_f64 v[2:3], v[26:27], v[10:11]
	v_fma_f64 v[20:21], v[20:21], v[0:1], v[22:23]
	v_fma_f64 v[4:5], v[36:37], v[4:5], v[38:39]
	v_fma_f64 v[10:11], v[24:25], v[10:11], -v[40:41]
	s_waitcnt lgkmcnt(1)
	v_mul_f64 v[26:27], v[34:35], v[14:15]
	v_mul_f64 v[34:35], v[34:35], v[12:13]
	s_waitcnt lgkmcnt(0)
	v_mul_f64 v[44:45], v[30:31], v[18:19]
	v_mul_f64 v[30:31], v[30:31], v[16:17]
	v_add_f64 v[0:1], v[42:43], v[6:7]
	v_fma_f64 v[8:9], v[24:25], v[8:9], v[2:3]
	v_add_f64 v[2:3], v[20:21], v[4:5]
	v_add_f64 v[22:23], v[20:21], -v[4:5]
	v_fma_f64 v[12:13], v[32:33], v[12:13], v[26:27]
	v_fma_f64 v[14:15], v[32:33], v[14:15], -v[34:35]
	v_fma_f64 v[16:17], v[28:29], v[16:17], v[44:45]
	v_fma_f64 v[18:19], v[28:29], v[18:19], -v[30:31]
	v_add_f64 v[28:29], v[42:43], -v[6:7]
	v_fma_f64 v[0:1], v[0:1], -0.5, v[10:11]
	v_add_f64 v[10:11], v[10:11], v[42:43]
	v_fma_f64 v[30:31], v[2:3], -0.5, v[8:9]
	v_add_f64 v[8:9], v[8:9], v[20:21]
	v_add_f64 v[24:25], v[12:13], v[16:17]
	;; [unrolled: 1-line block ×3, first 2 shown]
	v_add_f64 v[36:37], v[14:15], -v[18:19]
	v_fma_f64 v[32:33], v[22:23], s[0:1], v[0:1]
	v_fma_f64 v[22:23], v[22:23], s[2:3], v[0:1]
	ds_load_b128 v[0:3], v119
	v_add_f64 v[6:7], v[10:11], v[6:7]
	v_fma_f64 v[20:21], v[28:29], s[2:3], v[30:31]
	v_add_f64 v[4:5], v[8:9], v[4:5]
	s_waitcnt lgkmcnt(0)
	v_add_f64 v[34:35], v[0:1], v[12:13]
	v_add_f64 v[14:15], v[2:3], v[14:15]
	v_add_f64 v[12:13], v[12:13], -v[16:17]
	v_fma_f64 v[0:1], v[24:25], -0.5, v[0:1]
	v_fma_f64 v[2:3], v[26:27], -0.5, v[2:3]
	v_fma_f64 v[24:25], v[28:29], s[0:1], v[30:31]
	v_mul_f64 v[26:27], v[32:33], s[2:3]
	v_mul_f64 v[30:31], v[32:33], 0.5
	v_mul_f64 v[28:29], v[22:23], s[2:3]
	v_mul_f64 v[22:23], v[22:23], -0.5
	v_add_f64 v[16:17], v[34:35], v[16:17]
	v_add_f64 v[14:15], v[14:15], v[18:19]
	v_fma_f64 v[18:19], v[36:37], s[2:3], v[0:1]
	v_fma_f64 v[34:35], v[12:13], s[0:1], v[2:3]
	;; [unrolled: 1-line block ×4, first 2 shown]
	v_fma_f64 v[26:27], v[20:21], 0.5, v[26:27]
	v_fma_f64 v[30:31], v[20:21], s[0:1], v[30:31]
	v_fma_f64 v[28:29], v[24:25], -0.5, v[28:29]
	v_fma_f64 v[22:23], v[24:25], s[0:1], v[22:23]
	v_add_f64 v[0:1], v[16:17], v[4:5]
	v_add_f64 v[2:3], v[14:15], v[6:7]
	v_add_f64 v[6:7], v[14:15], -v[6:7]
	v_add_f64 v[4:5], v[16:17], -v[4:5]
	v_add_f64 v[8:9], v[18:19], v[26:27]
	v_add_f64 v[10:11], v[34:35], v[30:31]
	;; [unrolled: 1-line block ×4, first 2 shown]
	v_add_f64 v[16:17], v[18:19], -v[26:27]
	v_add_f64 v[18:19], v[34:35], -v[30:31]
	;; [unrolled: 1-line block ×4, first 2 shown]
	ds_store_b128 v119, v[0:3]
	ds_store_b128 v119, v[8:11] offset:1536
	ds_store_b128 v119, v[12:15] offset:3072
	;; [unrolled: 1-line block ×5, first 2 shown]
	s_waitcnt lgkmcnt(0)
	s_barrier
	buffer_gl0_inv
	s_and_b32 exec_lo, exec_lo, vcc_lo
	s_cbranch_execz .LBB0_15
; %bb.14:
	s_clause 0x1
	global_load_b128 v[2:5], v119, s[14:15]
	global_load_b128 v[6:9], v119, s[14:15] offset:576
	v_add_co_u32 v0, s0, s14, v119
	s_delay_alu instid0(VALU_DEP_1)
	v_add_co_ci_u32_e64 v1, null, s15, 0, s0
	s_clause 0x3
	global_load_b128 v[10:13], v119, s[14:15] offset:1152
	global_load_b128 v[14:17], v119, s[14:15] offset:1728
	global_load_b128 v[18:21], v119, s[14:15] offset:2304
	global_load_b128 v[22:25], v119, s[14:15] offset:2880
	v_add_co_u32 v98, vcc_lo, 0x1000, v0
	v_add_co_ci_u32_e32 v99, vcc_lo, 0, v1, vcc_lo
	s_clause 0x5
	global_load_b128 v[26:29], v119, s[14:15] offset:3456
	global_load_b128 v[30:33], v119, s[14:15] offset:4032
	global_load_b128 v[34:37], v[98:99], off offset:512
	global_load_b128 v[38:41], v[98:99], off offset:1088
	;; [unrolled: 1-line block ×4, first 2 shown]
	v_mad_u64_u32 v[82:83], null, s6, v116, 0
	v_mad_u64_u32 v[100:101], null, s4, v120, 0
	ds_load_b128 v[50:53], v119
	ds_load_b128 v[54:57], v119 offset:576
	s_mul_i32 s0, s5, 0x240
	s_mul_hi_u32 s3, s4, 0x240
	s_mul_i32 s2, s4, 0x240
	v_mov_b32_e32 v58, v83
	s_add_i32 s3, s3, s0
	v_mov_b32_e32 v59, v101
	s_mov_b32 s0, 0x1c71c71c
	s_mov_b32 s1, 0x3f5c71c7
	s_delay_alu instid0(VALU_DEP_1)
	v_mad_u64_u32 v[66:67], null, s7, v116, v[58:59]
	v_mad_u64_u32 v[84:85], null, s5, v120, v[59:60]
	ds_load_b128 v[58:61], v119 offset:1152
	ds_load_b128 v[62:65], v119 offset:1728
	v_mov_b32_e32 v83, v66
	ds_load_b128 v[66:69], v119 offset:2304
	ds_load_b128 v[70:73], v119 offset:2880
	;; [unrolled: 1-line block ×4, first 2 shown]
	v_mov_b32_e32 v101, v84
	v_lshlrev_b64 v[102:103], 4, v[82:83]
	ds_load_b128 v[82:85], v119 offset:4608
	ds_load_b128 v[86:89], v119 offset:5184
	;; [unrolled: 1-line block ×4, first 2 shown]
	v_lshlrev_b64 v[100:101], 4, v[100:101]
	v_add_co_u32 v118, vcc_lo, s12, v102
	v_add_co_ci_u32_e32 v128, vcc_lo, s13, v103, vcc_lo
	s_delay_alu instid0(VALU_DEP_2) | instskip(NEXT) | instid1(VALU_DEP_2)
	v_add_co_u32 v100, vcc_lo, v118, v100
	v_add_co_ci_u32_e32 v101, vcc_lo, v128, v101, vcc_lo
	s_delay_alu instid0(VALU_DEP_2) | instskip(NEXT) | instid1(VALU_DEP_2)
	v_add_co_u32 v128, vcc_lo, v100, s2
	v_add_co_ci_u32_e32 v129, vcc_lo, s3, v101, vcc_lo
	s_delay_alu instid0(VALU_DEP_2) | instskip(NEXT) | instid1(VALU_DEP_2)
	v_add_co_u32 v130, vcc_lo, v128, s2
	v_add_co_ci_u32_e32 v131, vcc_lo, s3, v129, vcc_lo
	s_waitcnt vmcnt(11) lgkmcnt(11)
	v_mul_f64 v[102:103], v[52:53], v[4:5]
	v_mul_f64 v[4:5], v[50:51], v[4:5]
	s_waitcnt vmcnt(10) lgkmcnt(10)
	v_mul_f64 v[104:105], v[56:57], v[8:9]
	v_mul_f64 v[8:9], v[54:55], v[8:9]
	;; [unrolled: 3-line block ×12, first 2 shown]
	v_fma_f64 v[50:51], v[50:51], v[2:3], v[102:103]
	v_fma_f64 v[4:5], v[2:3], v[52:53], -v[4:5]
	v_fma_f64 v[52:53], v[54:55], v[6:7], v[104:105]
	v_fma_f64 v[8:9], v[6:7], v[56:57], -v[8:9]
	;; [unrolled: 2-line block ×12, first 2 shown]
	v_add_co_u32 v74, vcc_lo, v130, s2
	v_add_co_ci_u32_e32 v75, vcc_lo, s3, v131, vcc_lo
	s_delay_alu instid0(VALU_DEP_2) | instskip(NEXT) | instid1(VALU_DEP_2)
	v_add_co_u32 v76, vcc_lo, v74, s2
	v_add_co_ci_u32_e32 v77, vcc_lo, s3, v75, vcc_lo
	s_delay_alu instid0(VALU_DEP_2) | instskip(NEXT) | instid1(VALU_DEP_2)
	v_add_co_u32 v78, vcc_lo, v76, s2
	v_add_co_ci_u32_e32 v79, vcc_lo, s3, v77, vcc_lo
	v_mul_f64 v[2:3], v[50:51], s[0:1]
	v_mul_f64 v[4:5], v[4:5], s[0:1]
	;; [unrolled: 1-line block ×24, first 2 shown]
	v_add_co_u32 v50, vcc_lo, v78, s2
	v_add_co_ci_u32_e32 v51, vcc_lo, s3, v79, vcc_lo
	s_delay_alu instid0(VALU_DEP_2) | instskip(NEXT) | instid1(VALU_DEP_2)
	v_add_co_u32 v52, vcc_lo, v50, s2
	v_add_co_ci_u32_e32 v53, vcc_lo, s3, v51, vcc_lo
	s_delay_alu instid0(VALU_DEP_2) | instskip(NEXT) | instid1(VALU_DEP_2)
	;; [unrolled: 3-line block ×5, first 2 shown]
	v_add_co_u32 v60, vcc_lo, v58, s2
	v_add_co_ci_u32_e32 v61, vcc_lo, s3, v59, vcc_lo
	s_clause 0x4
	global_store_b128 v[100:101], v[2:5], off
	global_store_b128 v[128:129], v[6:9], off
	;; [unrolled: 1-line block ×12, first 2 shown]
	global_load_b128 v[2:5], v[98:99], off offset:2816
	ds_load_b128 v[6:9], v119 offset:6912
	ds_load_b128 v[10:13], v119 offset:7488
	s_waitcnt vmcnt(0) lgkmcnt(1)
	v_mul_f64 v[14:15], v[8:9], v[4:5]
	v_mul_f64 v[4:5], v[6:7], v[4:5]
	s_delay_alu instid0(VALU_DEP_2) | instskip(NEXT) | instid1(VALU_DEP_2)
	v_fma_f64 v[6:7], v[6:7], v[2:3], v[14:15]
	v_fma_f64 v[4:5], v[2:3], v[8:9], -v[4:5]
	s_delay_alu instid0(VALU_DEP_2) | instskip(NEXT) | instid1(VALU_DEP_2)
	v_mul_f64 v[2:3], v[6:7], s[0:1]
	v_mul_f64 v[4:5], v[4:5], s[0:1]
	v_add_co_u32 v6, vcc_lo, v60, s2
	v_add_co_ci_u32_e32 v7, vcc_lo, s3, v61, vcc_lo
	s_delay_alu instid0(VALU_DEP_2) | instskip(NEXT) | instid1(VALU_DEP_2)
	v_add_co_u32 v14, vcc_lo, v6, s2
	v_add_co_ci_u32_e32 v15, vcc_lo, s3, v7, vcc_lo
	global_store_b128 v[6:7], v[2:5], off
	global_load_b128 v[2:5], v[98:99], off offset:3392
	s_waitcnt vmcnt(0) lgkmcnt(0)
	v_mul_f64 v[8:9], v[12:13], v[4:5]
	v_mul_f64 v[4:5], v[10:11], v[4:5]
	s_delay_alu instid0(VALU_DEP_2) | instskip(NEXT) | instid1(VALU_DEP_2)
	v_fma_f64 v[8:9], v[10:11], v[2:3], v[8:9]
	v_fma_f64 v[4:5], v[2:3], v[12:13], -v[4:5]
	s_delay_alu instid0(VALU_DEP_2) | instskip(NEXT) | instid1(VALU_DEP_2)
	v_mul_f64 v[2:3], v[8:9], s[0:1]
	v_mul_f64 v[4:5], v[4:5], s[0:1]
	global_store_b128 v[14:15], v[2:5], off
	global_load_b128 v[2:5], v[98:99], off offset:3968
	ds_load_b128 v[6:9], v119 offset:8064
	ds_load_b128 v[10:13], v119 offset:8640
	s_waitcnt vmcnt(0) lgkmcnt(1)
	v_mul_f64 v[16:17], v[8:9], v[4:5]
	v_mul_f64 v[4:5], v[6:7], v[4:5]
	s_delay_alu instid0(VALU_DEP_2) | instskip(NEXT) | instid1(VALU_DEP_2)
	v_fma_f64 v[6:7], v[6:7], v[2:3], v[16:17]
	v_fma_f64 v[4:5], v[2:3], v[8:9], -v[4:5]
	s_delay_alu instid0(VALU_DEP_2) | instskip(NEXT) | instid1(VALU_DEP_2)
	v_mul_f64 v[2:3], v[6:7], s[0:1]
	v_mul_f64 v[4:5], v[4:5], s[0:1]
	v_add_co_u32 v6, vcc_lo, v14, s2
	v_add_co_ci_u32_e32 v7, vcc_lo, s3, v15, vcc_lo
	v_add_co_u32 v0, vcc_lo, 0x2000, v0
	v_add_co_ci_u32_e32 v1, vcc_lo, 0, v1, vcc_lo
	global_store_b128 v[6:7], v[2:5], off
	global_load_b128 v[0:3], v[0:1], off offset:448
	s_waitcnt vmcnt(0) lgkmcnt(0)
	v_mul_f64 v[4:5], v[12:13], v[2:3]
	v_mul_f64 v[2:3], v[10:11], v[2:3]
	s_delay_alu instid0(VALU_DEP_2) | instskip(NEXT) | instid1(VALU_DEP_2)
	v_fma_f64 v[4:5], v[10:11], v[0:1], v[4:5]
	v_fma_f64 v[2:3], v[0:1], v[12:13], -v[2:3]
	s_delay_alu instid0(VALU_DEP_2) | instskip(NEXT) | instid1(VALU_DEP_2)
	v_mul_f64 v[0:1], v[4:5], s[0:1]
	v_mul_f64 v[2:3], v[2:3], s[0:1]
	v_add_co_u32 v4, vcc_lo, v6, s2
	v_add_co_ci_u32_e32 v5, vcc_lo, s3, v7, vcc_lo
	global_store_b128 v[4:5], v[0:3], off
.LBB0_15:
	s_nop 0
	s_sendmsg sendmsg(MSG_DEALLOC_VGPRS)
	s_endpgm
	.section	.rodata,"a",@progbits
	.p2align	6, 0x0
	.amdhsa_kernel bluestein_single_back_len576_dim1_dp_op_CI_CI
		.amdhsa_group_segment_fixed_size 9216
		.amdhsa_private_segment_fixed_size 0
		.amdhsa_kernarg_size 104
		.amdhsa_user_sgpr_count 15
		.amdhsa_user_sgpr_dispatch_ptr 0
		.amdhsa_user_sgpr_queue_ptr 0
		.amdhsa_user_sgpr_kernarg_segment_ptr 1
		.amdhsa_user_sgpr_dispatch_id 0
		.amdhsa_user_sgpr_private_segment_size 0
		.amdhsa_wavefront_size32 1
		.amdhsa_uses_dynamic_stack 0
		.amdhsa_enable_private_segment 0
		.amdhsa_system_sgpr_workgroup_id_x 1
		.amdhsa_system_sgpr_workgroup_id_y 0
		.amdhsa_system_sgpr_workgroup_id_z 0
		.amdhsa_system_sgpr_workgroup_info 0
		.amdhsa_system_vgpr_workitem_id 0
		.amdhsa_next_free_vgpr 187
		.amdhsa_next_free_sgpr 22
		.amdhsa_reserve_vcc 1
		.amdhsa_float_round_mode_32 0
		.amdhsa_float_round_mode_16_64 0
		.amdhsa_float_denorm_mode_32 3
		.amdhsa_float_denorm_mode_16_64 3
		.amdhsa_dx10_clamp 1
		.amdhsa_ieee_mode 1
		.amdhsa_fp16_overflow 0
		.amdhsa_workgroup_processor_mode 1
		.amdhsa_memory_ordered 1
		.amdhsa_forward_progress 0
		.amdhsa_shared_vgpr_count 0
		.amdhsa_exception_fp_ieee_invalid_op 0
		.amdhsa_exception_fp_denorm_src 0
		.amdhsa_exception_fp_ieee_div_zero 0
		.amdhsa_exception_fp_ieee_overflow 0
		.amdhsa_exception_fp_ieee_underflow 0
		.amdhsa_exception_fp_ieee_inexact 0
		.amdhsa_exception_int_div_zero 0
	.end_amdhsa_kernel
	.text
.Lfunc_end0:
	.size	bluestein_single_back_len576_dim1_dp_op_CI_CI, .Lfunc_end0-bluestein_single_back_len576_dim1_dp_op_CI_CI
                                        ; -- End function
	.section	.AMDGPU.csdata,"",@progbits
; Kernel info:
; codeLenInByte = 10672
; NumSgprs: 24
; NumVgprs: 187
; ScratchSize: 0
; MemoryBound: 0
; FloatMode: 240
; IeeeMode: 1
; LDSByteSize: 9216 bytes/workgroup (compile time only)
; SGPRBlocks: 2
; VGPRBlocks: 23
; NumSGPRsForWavesPerEU: 24
; NumVGPRsForWavesPerEU: 187
; Occupancy: 8
; WaveLimiterHint : 1
; COMPUTE_PGM_RSRC2:SCRATCH_EN: 0
; COMPUTE_PGM_RSRC2:USER_SGPR: 15
; COMPUTE_PGM_RSRC2:TRAP_HANDLER: 0
; COMPUTE_PGM_RSRC2:TGID_X_EN: 1
; COMPUTE_PGM_RSRC2:TGID_Y_EN: 0
; COMPUTE_PGM_RSRC2:TGID_Z_EN: 0
; COMPUTE_PGM_RSRC2:TIDIG_COMP_CNT: 0
	.text
	.p2alignl 7, 3214868480
	.fill 96, 4, 3214868480
	.type	__hip_cuid_3fe3bf510316a7d0,@object ; @__hip_cuid_3fe3bf510316a7d0
	.section	.bss,"aw",@nobits
	.globl	__hip_cuid_3fe3bf510316a7d0
__hip_cuid_3fe3bf510316a7d0:
	.byte	0                               ; 0x0
	.size	__hip_cuid_3fe3bf510316a7d0, 1

	.ident	"AMD clang version 19.0.0git (https://github.com/RadeonOpenCompute/llvm-project roc-6.4.0 25133 c7fe45cf4b819c5991fe208aaa96edf142730f1d)"
	.section	".note.GNU-stack","",@progbits
	.addrsig
	.addrsig_sym __hip_cuid_3fe3bf510316a7d0
	.amdgpu_metadata
---
amdhsa.kernels:
  - .args:
      - .actual_access:  read_only
        .address_space:  global
        .offset:         0
        .size:           8
        .value_kind:     global_buffer
      - .actual_access:  read_only
        .address_space:  global
        .offset:         8
        .size:           8
        .value_kind:     global_buffer
      - .actual_access:  read_only
        .address_space:  global
        .offset:         16
        .size:           8
        .value_kind:     global_buffer
      - .actual_access:  read_only
        .address_space:  global
        .offset:         24
        .size:           8
        .value_kind:     global_buffer
      - .actual_access:  read_only
        .address_space:  global
        .offset:         32
        .size:           8
        .value_kind:     global_buffer
      - .offset:         40
        .size:           8
        .value_kind:     by_value
      - .address_space:  global
        .offset:         48
        .size:           8
        .value_kind:     global_buffer
      - .address_space:  global
        .offset:         56
        .size:           8
        .value_kind:     global_buffer
      - .address_space:  global
        .offset:         64
        .size:           8
        .value_kind:     global_buffer
      - .address_space:  global
        .offset:         72
        .size:           8
        .value_kind:     global_buffer
      - .offset:         80
        .size:           4
        .value_kind:     by_value
      - .address_space:  global
        .offset:         88
        .size:           8
        .value_kind:     global_buffer
      - .address_space:  global
        .offset:         96
        .size:           8
        .value_kind:     global_buffer
    .group_segment_fixed_size: 9216
    .kernarg_segment_align: 8
    .kernarg_segment_size: 104
    .language:       OpenCL C
    .language_version:
      - 2
      - 0
    .max_flat_workgroup_size: 96
    .name:           bluestein_single_back_len576_dim1_dp_op_CI_CI
    .private_segment_fixed_size: 0
    .sgpr_count:     24
    .sgpr_spill_count: 0
    .symbol:         bluestein_single_back_len576_dim1_dp_op_CI_CI.kd
    .uniform_work_group_size: 1
    .uses_dynamic_stack: false
    .vgpr_count:     187
    .vgpr_spill_count: 0
    .wavefront_size: 32
    .workgroup_processor_mode: 1
amdhsa.target:   amdgcn-amd-amdhsa--gfx1100
amdhsa.version:
  - 1
  - 2
...

	.end_amdgpu_metadata
